;; amdgpu-corpus repo=ROCm/rocFFT kind=compiled arch=gfx950 opt=O3
	.text
	.amdgcn_target "amdgcn-amd-amdhsa--gfx950"
	.amdhsa_code_object_version 6
	.protected	fft_rtc_fwd_len768_factors_16_3_16_wgs_48_tpt_48_halfLds_dp_ip_CI_sbrr_dirReg ; -- Begin function fft_rtc_fwd_len768_factors_16_3_16_wgs_48_tpt_48_halfLds_dp_ip_CI_sbrr_dirReg
	.globl	fft_rtc_fwd_len768_factors_16_3_16_wgs_48_tpt_48_halfLds_dp_ip_CI_sbrr_dirReg
	.p2align	8
	.type	fft_rtc_fwd_len768_factors_16_3_16_wgs_48_tpt_48_halfLds_dp_ip_CI_sbrr_dirReg,@function
fft_rtc_fwd_len768_factors_16_3_16_wgs_48_tpt_48_halfLds_dp_ip_CI_sbrr_dirReg: ; @fft_rtc_fwd_len768_factors_16_3_16_wgs_48_tpt_48_halfLds_dp_ip_CI_sbrr_dirReg
; %bb.0:
	s_load_dwordx2 s[12:13], s[0:1], 0x18
	s_load_dwordx4 s[4:7], s[0:1], 0x0
	s_load_dwordx2 s[10:11], s[0:1], 0x50
	v_mul_u32_u24_e32 v1, 0x556, v0
	v_add_u32_sdwa v6, s2, v1 dst_sel:DWORD dst_unused:UNUSED_PAD src0_sel:DWORD src1_sel:WORD_1
	s_waitcnt lgkmcnt(0)
	s_load_dwordx2 s[8:9], s[12:13], 0x0
	v_mov_b32_e32 v4, 0
	v_cmp_lt_u64_e64 s[2:3], s[6:7], 2
	v_mov_b32_e32 v7, v4
	s_and_b64 vcc, exec, s[2:3]
	v_mov_b64_e32 v[2:3], 0
	s_cbranch_vccnz .LBB0_8
; %bb.1:
	s_load_dwordx2 s[2:3], s[0:1], 0x10
	s_add_u32 s14, s12, 8
	s_addc_u32 s15, s13, 0
	s_mov_b64 s[16:17], 1
	v_mov_b64_e32 v[2:3], 0
	s_waitcnt lgkmcnt(0)
	s_add_u32 s18, s2, 8
	s_addc_u32 s19, s3, 0
.LBB0_2:                                ; =>This Inner Loop Header: Depth=1
	s_load_dwordx2 s[20:21], s[18:19], 0x0
                                        ; implicit-def: $vgpr8_vgpr9
	s_waitcnt lgkmcnt(0)
	v_or_b32_e32 v5, s21, v7
	v_cmp_ne_u64_e32 vcc, 0, v[4:5]
	s_and_saveexec_b64 s[2:3], vcc
	s_xor_b64 s[22:23], exec, s[2:3]
	s_cbranch_execz .LBB0_4
; %bb.3:                                ;   in Loop: Header=BB0_2 Depth=1
	v_cvt_f32_u32_e32 v1, s20
	v_cvt_f32_u32_e32 v5, s21
	s_sub_u32 s2, 0, s20
	s_subb_u32 s3, 0, s21
	v_fmac_f32_e32 v1, 0x4f800000, v5
	v_rcp_f32_e32 v1, v1
	s_nop 0
	v_mul_f32_e32 v1, 0x5f7ffffc, v1
	v_mul_f32_e32 v5, 0x2f800000, v1
	v_trunc_f32_e32 v5, v5
	v_fmac_f32_e32 v1, 0xcf800000, v5
	v_cvt_u32_f32_e32 v5, v5
	v_cvt_u32_f32_e32 v1, v1
	v_mul_lo_u32 v8, s2, v5
	v_mul_hi_u32 v10, s2, v1
	v_mul_lo_u32 v9, s3, v1
	v_add_u32_e32 v10, v10, v8
	v_mul_lo_u32 v12, s2, v1
	v_add_u32_e32 v13, v10, v9
	v_mul_hi_u32 v8, v1, v12
	v_mul_hi_u32 v11, v1, v13
	v_mul_lo_u32 v10, v1, v13
	v_mov_b32_e32 v9, v4
	v_lshl_add_u64 v[8:9], v[8:9], 0, v[10:11]
	v_mul_hi_u32 v11, v5, v12
	v_mul_lo_u32 v12, v5, v12
	v_add_co_u32_e32 v8, vcc, v8, v12
	v_mul_hi_u32 v10, v5, v13
	s_nop 0
	v_addc_co_u32_e32 v8, vcc, v9, v11, vcc
	v_mov_b32_e32 v9, v4
	s_nop 0
	v_addc_co_u32_e32 v11, vcc, 0, v10, vcc
	v_mul_lo_u32 v10, v5, v13
	v_lshl_add_u64 v[8:9], v[8:9], 0, v[10:11]
	v_add_co_u32_e32 v1, vcc, v1, v8
	v_mul_lo_u32 v10, s2, v1
	s_nop 0
	v_addc_co_u32_e32 v5, vcc, v5, v9, vcc
	v_mul_lo_u32 v8, s2, v5
	v_mul_hi_u32 v9, s2, v1
	v_add_u32_e32 v8, v9, v8
	v_mul_lo_u32 v9, s3, v1
	v_add_u32_e32 v12, v8, v9
	v_mul_hi_u32 v14, v5, v10
	v_mul_lo_u32 v15, v5, v10
	v_mul_hi_u32 v9, v1, v12
	v_mul_lo_u32 v8, v1, v12
	v_mul_hi_u32 v10, v1, v10
	v_mov_b32_e32 v11, v4
	v_lshl_add_u64 v[8:9], v[10:11], 0, v[8:9]
	v_add_co_u32_e32 v8, vcc, v8, v15
	v_mul_hi_u32 v13, v5, v12
	s_nop 0
	v_addc_co_u32_e32 v8, vcc, v9, v14, vcc
	v_mul_lo_u32 v10, v5, v12
	s_nop 0
	v_addc_co_u32_e32 v11, vcc, 0, v13, vcc
	v_mov_b32_e32 v9, v4
	v_lshl_add_u64 v[8:9], v[8:9], 0, v[10:11]
	v_add_co_u32_e32 v1, vcc, v1, v8
	v_mul_hi_u32 v10, v6, v1
	s_nop 0
	v_addc_co_u32_e32 v5, vcc, v5, v9, vcc
	v_mad_u64_u32 v[8:9], s[2:3], v6, v5, 0
	v_mov_b32_e32 v11, v4
	v_lshl_add_u64 v[8:9], v[10:11], 0, v[8:9]
	v_mad_u64_u32 v[12:13], s[2:3], v7, v1, 0
	v_add_co_u32_e32 v1, vcc, v8, v12
	v_mad_u64_u32 v[10:11], s[2:3], v7, v5, 0
	s_nop 0
	v_addc_co_u32_e32 v8, vcc, v9, v13, vcc
	v_mov_b32_e32 v9, v4
	s_nop 0
	v_addc_co_u32_e32 v11, vcc, 0, v11, vcc
	v_lshl_add_u64 v[8:9], v[8:9], 0, v[10:11]
	v_mul_lo_u32 v1, s21, v8
	v_mul_lo_u32 v5, s20, v9
	v_mad_u64_u32 v[10:11], s[2:3], s20, v8, 0
	v_add3_u32 v1, v11, v5, v1
	v_sub_u32_e32 v5, v7, v1
	v_mov_b32_e32 v11, s21
	v_sub_co_u32_e32 v14, vcc, v6, v10
	v_lshl_add_u64 v[12:13], v[8:9], 0, 1
	s_nop 0
	v_subb_co_u32_e64 v5, s[2:3], v5, v11, vcc
	v_subrev_co_u32_e64 v10, s[2:3], s20, v14
	v_subb_co_u32_e32 v1, vcc, v7, v1, vcc
	s_nop 0
	v_subbrev_co_u32_e64 v5, s[2:3], 0, v5, s[2:3]
	v_cmp_le_u32_e64 s[2:3], s21, v5
	v_cmp_le_u32_e32 vcc, s21, v1
	s_nop 0
	v_cndmask_b32_e64 v11, 0, -1, s[2:3]
	v_cmp_le_u32_e64 s[2:3], s20, v10
	s_nop 1
	v_cndmask_b32_e64 v10, 0, -1, s[2:3]
	v_cmp_eq_u32_e64 s[2:3], s21, v5
	s_nop 1
	v_cndmask_b32_e64 v5, v11, v10, s[2:3]
	v_lshl_add_u64 v[10:11], v[8:9], 0, 2
	v_cmp_ne_u32_e64 s[2:3], 0, v5
	s_nop 1
	v_cndmask_b32_e64 v5, v13, v11, s[2:3]
	v_cndmask_b32_e64 v11, 0, -1, vcc
	v_cmp_le_u32_e32 vcc, s20, v14
	s_nop 1
	v_cndmask_b32_e64 v13, 0, -1, vcc
	v_cmp_eq_u32_e32 vcc, s21, v1
	s_nop 1
	v_cndmask_b32_e32 v1, v11, v13, vcc
	v_cmp_ne_u32_e32 vcc, 0, v1
	v_cndmask_b32_e64 v1, v12, v10, s[2:3]
	s_nop 0
	v_cndmask_b32_e32 v9, v9, v5, vcc
	v_cndmask_b32_e32 v8, v8, v1, vcc
.LBB0_4:                                ;   in Loop: Header=BB0_2 Depth=1
	s_andn2_saveexec_b64 s[2:3], s[22:23]
	s_cbranch_execz .LBB0_6
; %bb.5:                                ;   in Loop: Header=BB0_2 Depth=1
	v_cvt_f32_u32_e32 v1, s20
	s_sub_i32 s22, 0, s20
	v_rcp_iflag_f32_e32 v1, v1
	s_nop 0
	v_mul_f32_e32 v1, 0x4f7ffffe, v1
	v_cvt_u32_f32_e32 v1, v1
	v_mul_lo_u32 v5, s22, v1
	v_mul_hi_u32 v5, v1, v5
	v_add_u32_e32 v1, v1, v5
	v_mul_hi_u32 v1, v6, v1
	v_mul_lo_u32 v5, v1, s20
	v_sub_u32_e32 v5, v6, v5
	v_add_u32_e32 v8, 1, v1
	v_subrev_u32_e32 v9, s20, v5
	v_cmp_le_u32_e32 vcc, s20, v5
	s_nop 1
	v_cndmask_b32_e32 v5, v5, v9, vcc
	v_cndmask_b32_e32 v1, v1, v8, vcc
	v_add_u32_e32 v8, 1, v1
	v_cmp_le_u32_e32 vcc, s20, v5
	v_mov_b32_e32 v9, v4
	s_nop 0
	v_cndmask_b32_e32 v8, v1, v8, vcc
.LBB0_6:                                ;   in Loop: Header=BB0_2 Depth=1
	s_or_b64 exec, exec, s[2:3]
	v_mad_u64_u32 v[10:11], s[2:3], v8, s20, 0
	s_load_dwordx2 s[2:3], s[14:15], 0x0
	v_mul_lo_u32 v1, v9, s20
	v_mul_lo_u32 v5, v8, s21
	v_add3_u32 v1, v11, v5, v1
	v_sub_co_u32_e32 v5, vcc, v6, v10
	s_add_u32 s16, s16, 1
	s_nop 0
	v_subb_co_u32_e32 v1, vcc, v7, v1, vcc
	s_addc_u32 s17, s17, 0
	s_waitcnt lgkmcnt(0)
	v_mul_lo_u32 v1, s2, v1
	v_mul_lo_u32 v6, s3, v5
	v_mad_u64_u32 v[2:3], s[2:3], s2, v5, v[2:3]
	s_add_u32 s14, s14, 8
	v_add3_u32 v3, v6, v3, v1
	s_addc_u32 s15, s15, 0
	v_mov_b64_e32 v[6:7], s[6:7]
	s_add_u32 s18, s18, 8
	v_cmp_ge_u64_e32 vcc, s[16:17], v[6:7]
	s_addc_u32 s19, s19, 0
	s_cbranch_vccnz .LBB0_9
; %bb.7:                                ;   in Loop: Header=BB0_2 Depth=1
	v_mov_b64_e32 v[6:7], v[8:9]
	s_branch .LBB0_2
.LBB0_8:
	v_mov_b64_e32 v[8:9], v[6:7]
.LBB0_9:
	s_lshl_b64 s[2:3], s[6:7], 3
	s_add_u32 s2, s12, s2
	s_addc_u32 s3, s13, s3
	s_load_dwordx2 s[6:7], s[2:3], 0x0
	s_load_dwordx2 s[12:13], s[0:1], 0x20
	s_mov_b32 s2, 0x5555556
                                        ; implicit-def: $vgpr95
                                        ; implicit-def: $vgpr96
                                        ; implicit-def: $vgpr97
                                        ; implicit-def: $vgpr103
	s_waitcnt lgkmcnt(0)
	v_mul_lo_u32 v1, s6, v9
	v_mul_lo_u32 v4, s7, v8
	v_mad_u64_u32 v[2:3], s[0:1], s6, v8, v[2:3]
	v_add3_u32 v3, v4, v3, v1
	v_mul_hi_u32 v1, v0, s2
	v_mul_u32_u24_e32 v1, 48, v1
	v_sub_u32_e32 v93, v0, v1
	v_cmp_gt_u64_e32 vcc, s[12:13], v[8:9]
	v_cmp_le_u64_e64 s[0:1], s[12:13], v[8:9]
	v_add_u32_e32 v94, 48, v93
                                        ; implicit-def: $sgpr2
	s_and_saveexec_b64 s[6:7], s[0:1]
	s_xor_b64 s[0:1], exec, s[6:7]
; %bb.10:
	v_add_u32_e32 v94, 48, v93
	v_add_u32_e32 v95, 0x60, v93
	;; [unrolled: 1-line block ×3, first 2 shown]
	v_or_b32_e32 v97, 0xc0, v93
	v_add_u32_e32 v103, 0xf0, v93
	s_mov_b32 s2, 0
; %bb.11:
	s_or_saveexec_b64 s[0:1], s[0:1]
	v_mov_b32_e32 v92, s2
	v_lshl_add_u64 v[68:69], v[2:3], 4, s[10:11]
                                        ; implicit-def: $vgpr18_vgpr19
                                        ; implicit-def: $vgpr26_vgpr27
                                        ; implicit-def: $vgpr22_vgpr23
                                        ; implicit-def: $vgpr8_vgpr9
                                        ; implicit-def: $vgpr30_vgpr31
                                        ; implicit-def: $vgpr34_vgpr35
                                        ; implicit-def: $vgpr14_vgpr15
                                        ; implicit-def: $vgpr58_vgpr59
                                        ; implicit-def: $vgpr46_vgpr47
                                        ; implicit-def: $vgpr66_vgpr67
                                        ; implicit-def: $vgpr54_vgpr55
                                        ; implicit-def: $vgpr62_vgpr63
                                        ; implicit-def: $vgpr50_vgpr51
                                        ; implicit-def: $vgpr42_vgpr43
                                        ; implicit-def: $vgpr38_vgpr39
                                        ; implicit-def: $vgpr2_vgpr3
	s_xor_b64 exec, exec, s[0:1]
	s_cbranch_execz .LBB0_13
; %bb.12:
	v_mad_u64_u32 v[0:1], s[2:3], s8, v93, 0
	v_mov_b32_e32 v2, v1
	v_mad_u64_u32 v[2:3], s[2:3], s9, v93, v[2:3]
	v_mov_b32_e32 v1, v2
	v_lshl_add_u64 v[4:5], v[0:1], 4, v[68:69]
	v_mad_u64_u32 v[0:1], s[2:3], s8, v94, 0
	v_mov_b32_e32 v2, v1
	v_mad_u64_u32 v[2:3], s[2:3], s9, v94, v[2:3]
	v_mov_b32_e32 v1, v2
	v_add_u32_e32 v95, 0x60, v93
	v_lshl_add_u64 v[6:7], v[0:1], 4, v[68:69]
	global_load_dwordx4 v[0:3], v[4:5], off
	global_load_dwordx4 v[16:19], v[6:7], off
	v_mad_u64_u32 v[4:5], s[2:3], s8, v95, 0
	v_mov_b32_e32 v6, v5
	v_mad_u64_u32 v[6:7], s[2:3], s9, v95, v[6:7]
	v_add_u32_e32 v96, 0x90, v93
	v_mov_b32_e32 v5, v6
	v_mad_u64_u32 v[6:7], s[2:3], s8, v96, 0
	v_mov_b32_e32 v8, v7
	v_mad_u64_u32 v[8:9], s[2:3], s9, v96, v[8:9]
	v_lshl_add_u64 v[4:5], v[4:5], 4, v[68:69]
	v_mov_b32_e32 v7, v8
	v_or_b32_e32 v97, 0xc0, v93
	v_lshl_add_u64 v[6:7], v[6:7], 4, v[68:69]
	global_load_dwordx4 v[24:27], v[4:5], off
	global_load_dwordx4 v[20:23], v[6:7], off
	v_mad_u64_u32 v[4:5], s[2:3], s8, v97, 0
	v_mov_b32_e32 v6, v5
	v_mad_u64_u32 v[6:7], s[2:3], s9, v97, v[6:7]
	v_add_u32_e32 v103, 0xf0, v93
	v_mov_b32_e32 v5, v6
	v_mad_u64_u32 v[6:7], s[2:3], s8, v103, 0
	v_mov_b32_e32 v8, v7
	v_mad_u64_u32 v[8:9], s[2:3], s9, v103, v[8:9]
	v_mov_b32_e32 v7, v8
	v_lshl_add_u64 v[4:5], v[4:5], 4, v[68:69]
	v_lshl_add_u64 v[10:11], v[6:7], 4, v[68:69]
	global_load_dwordx4 v[6:9], v[4:5], off
	global_load_dwordx4 v[28:31], v[10:11], off
	v_add_u32_e32 v11, 0x120, v93
	v_mad_u64_u32 v[4:5], s[2:3], s8, v11, 0
	v_mov_b32_e32 v10, v5
	v_mad_u64_u32 v[10:11], s[2:3], s9, v11, v[10:11]
	v_add_u32_e32 v13, 0x150, v93
	v_mov_b32_e32 v5, v10
	v_mad_u64_u32 v[10:11], s[2:3], s8, v13, 0
	v_mov_b32_e32 v12, v11
	v_mad_u64_u32 v[12:13], s[2:3], s9, v13, v[12:13]
	v_mov_b32_e32 v11, v12
	v_lshl_add_u64 v[4:5], v[4:5], 4, v[68:69]
	v_lshl_add_u64 v[10:11], v[10:11], 4, v[68:69]
	global_load_dwordx4 v[36:39], v[4:5], off
	global_load_dwordx4 v[32:35], v[10:11], off
	v_or_b32_e32 v11, 0x180, v93
	v_mad_u64_u32 v[4:5], s[2:3], s8, v11, 0
	v_mov_b32_e32 v10, v5
	v_mad_u64_u32 v[10:11], s[2:3], s9, v11, v[10:11]
	v_add_u32_e32 v13, 0x1b0, v93
	v_mov_b32_e32 v5, v10
	v_mad_u64_u32 v[10:11], s[2:3], s8, v13, 0
	v_mov_b32_e32 v12, v11
	v_mad_u64_u32 v[12:13], s[2:3], s9, v13, v[12:13]
	v_add_u32_e32 v13, 0x1e0, v93
	v_mad_u64_u32 v[44:45], s[2:3], s8, v13, 0
	v_mov_b32_e32 v11, v12
	v_mov_b32_e32 v12, v45
	v_mad_u64_u32 v[12:13], s[2:3], s9, v13, v[12:13]
	v_add_u32_e32 v13, 0x210, v93
	v_mad_u64_u32 v[46:47], s[2:3], s8, v13, 0
	v_mov_b32_e32 v45, v12
	v_mov_b32_e32 v12, v47
	v_mad_u64_u32 v[12:13], s[2:3], s9, v13, v[12:13]
	v_or_b32_e32 v13, 0x240, v93
	v_mad_u64_u32 v[48:49], s[2:3], s8, v13, 0
	v_mov_b32_e32 v47, v12
	v_mov_b32_e32 v12, v49
	v_mad_u64_u32 v[12:13], s[2:3], s9, v13, v[12:13]
	v_add_u32_e32 v13, 0x270, v93
	v_mad_u64_u32 v[50:51], s[2:3], s8, v13, 0
	v_mov_b32_e32 v49, v12
	v_mov_b32_e32 v12, v51
	v_mad_u64_u32 v[12:13], s[2:3], s9, v13, v[12:13]
	v_add_u32_e32 v13, 0x2a0, v93
	;; [unrolled: 5-line block ×3, first 2 shown]
	v_mad_u64_u32 v[54:55], s[2:3], s8, v13, 0
	v_mov_b32_e32 v53, v12
	v_mov_b32_e32 v12, v55
	v_lshl_add_u64 v[4:5], v[4:5], 4, v[68:69]
	v_mad_u64_u32 v[12:13], s[2:3], s9, v13, v[12:13]
	v_lshl_add_u64 v[10:11], v[10:11], 4, v[68:69]
	v_mov_b32_e32 v55, v12
	global_load_dwordx4 v[12:15], v[4:5], off
	global_load_dwordx4 v[40:43], v[10:11], off
	v_lshl_add_u64 v[4:5], v[44:45], 4, v[68:69]
	v_lshl_add_u64 v[10:11], v[46:47], 4, v[68:69]
	;; [unrolled: 1-line block ×6, first 2 shown]
	global_load_dwordx4 v[56:59], v[4:5], off
	global_load_dwordx4 v[44:47], v[10:11], off
	;; [unrolled: 1-line block ×6, first 2 shown]
	v_mov_b32_e32 v92, v93
.LBB0_13:
	s_or_b64 exec, exec, s[0:1]
	s_waitcnt vmcnt(5)
	v_add_f64 v[58:59], v[26:27], -v[58:59]
	v_add_f64 v[4:5], v[0:1], -v[12:13]
	v_add_f64 v[12:13], v[24:25], -v[56:57]
	v_fma_f64 v[56:57], v[26:27], 2.0, -v[58:59]
	s_waitcnt vmcnt(1)
	v_add_f64 v[26:27], v[36:37], -v[60:61]
	v_add_f64 v[60:61], v[38:39], -v[62:63]
	v_fma_f64 v[62:63], v[38:39], 2.0, -v[60:61]
	v_add_f64 v[38:39], v[16:17], -v[40:41]
	v_fma_f64 v[10:11], v[0:1], 2.0, -v[4:5]
	v_add_f64 v[0:1], v[6:7], -v[64:65]
	v_add_f64 v[64:65], v[8:9], -v[66:67]
	v_add_f64 v[40:41], v[18:19], -v[42:43]
	v_fma_f64 v[66:67], v[16:17], 2.0, -v[38:39]
	v_add_f64 v[16:17], v[28:29], -v[52:53]
	v_add_f64 v[42:43], v[20:21], -v[44:45]
	;; [unrolled: 1-line block ×3, first 2 shown]
	s_waitcnt vmcnt(0)
	v_add_f64 v[46:47], v[32:33], -v[48:49]
	v_add_f64 v[48:49], v[34:35], -v[50:51]
	v_fma_f64 v[24:25], v[24:25], 2.0, -v[12:13]
	v_fma_f64 v[36:37], v[36:37], 2.0, -v[26:27]
	;; [unrolled: 1-line block ×3, first 2 shown]
	v_add_f64 v[18:19], v[30:31], -v[54:55]
	v_add_f64 v[54:55], v[16:17], v[40:41]
	v_add_f64 v[72:73], v[42:43], -v[48:49]
	v_fma_f64 v[30:31], v[30:31], 2.0, -v[18:19]
	v_fma_f64 v[20:21], v[20:21], 2.0, -v[42:43]
	v_add_f64 v[18:19], v[38:39], -v[18:19]
	v_fma_f64 v[52:53], v[40:41], 2.0, -v[54:55]
	v_fma_f64 v[40:41], v[42:43], 2.0, -v[72:73]
	s_mov_b32 s0, 0x667f3bcd
	v_fma_f64 v[6:7], v[6:7], 2.0, -v[0:1]
	v_add_f64 v[78:79], v[4:5], -v[64:65]
	v_add_f64 v[42:43], v[24:25], -v[36:37]
	v_add_f64 v[36:37], v[12:13], -v[60:61]
	v_fma_f64 v[28:29], v[28:29], 2.0, -v[16:17]
	v_fma_f64 v[32:33], v[32:33], 2.0, -v[46:47]
	v_fma_f64 v[50:51], v[38:39], 2.0, -v[18:19]
	v_add_f64 v[74:75], v[44:45], v[46:47]
	s_mov_b32 s1, 0x3fe6a09e
	s_mov_b32 s11, 0xbfe6a09e
	;; [unrolled: 1-line block ×3, first 2 shown]
	v_add_f64 v[76:77], v[10:11], -v[6:7]
	v_fma_f64 v[4:5], v[4:5], 2.0, -v[78:79]
	v_add_f64 v[60:61], v[58:59], v[26:27]
	v_fma_f64 v[80:81], v[12:13], 2.0, -v[36:37]
	v_fma_f64 v[38:39], v[44:45], 2.0, -v[74:75]
	v_fma_f64 v[16:17], s[10:11], v[40:41], v[50:51]
	v_fma_f64 v[6:7], v[10:11], 2.0, -v[76:77]
	v_fma_f64 v[10:11], v[24:25], 2.0, -v[42:43]
	;; [unrolled: 1-line block ×3, first 2 shown]
	v_add_f64 v[24:25], v[66:67], -v[28:29]
	v_add_f64 v[26:27], v[20:21], -v[32:33]
	v_fma_f64 v[32:33], s[10:11], v[80:81], v[4:5]
	v_fmac_f64_e32 v[16:17], s[10:11], v[38:39]
	v_fma_f64 v[38:39], s[10:11], v[38:39], v[52:53]
	v_fma_f64 v[12:13], v[66:67], 2.0, -v[24:25]
	v_fma_f64 v[20:21], v[20:21], 2.0, -v[26:27]
	v_fmac_f64_e32 v[32:33], s[10:11], v[58:59]
	s_mov_b32 s6, 0xcf328d46
	v_fma_f64 v[22:23], v[22:23], 2.0, -v[44:45]
	v_fma_f64 v[34:35], v[34:35], 2.0, -v[48:49]
	v_fmac_f64_e32 v[38:39], s[0:1], v[40:41]
	v_add_f64 v[28:29], v[6:7], -v[10:11]
	v_fma_f64 v[48:49], v[4:5], 2.0, -v[32:33]
	v_add_f64 v[40:41], v[12:13], -v[20:21]
	v_fma_f64 v[44:45], v[50:51], 2.0, -v[16:17]
	s_mov_b32 s7, 0xbfed906b
	s_mov_b32 s2, 0xa6aea964
	v_fma_f64 v[6:7], v[6:7], 2.0, -v[28:29]
	v_fma_f64 v[4:5], v[12:13], 2.0, -v[40:41]
	;; [unrolled: 1-line block ×3, first 2 shown]
	v_fma_f64 v[12:13], s[6:7], v[44:45], v[48:49]
	s_mov_b32 s3, 0xbfd87de2
	v_add_f64 v[10:11], v[6:7], -v[4:5]
	v_fmac_f64_e32 v[12:13], s[2:3], v[46:47]
	v_fma_f64 v[4:5], v[6:7], 2.0, -v[10:11]
	v_fma_f64 v[6:7], v[48:49], 2.0, -v[12:13]
	v_fma_f64 v[48:49], s[0:1], v[72:73], v[18:19]
	v_fmac_f64_e32 v[48:49], s[10:11], v[74:75]
	v_fma_f64 v[50:51], s[0:1], v[74:75], v[54:55]
	v_add_f64 v[66:67], v[56:57], -v[62:63]
	v_add_f64 v[34:35], v[22:23], -v[34:35]
	v_fma_f64 v[74:75], s[0:1], v[36:37], v[78:79]
	v_lshl_add_u32 v104, v93, 7, 0
	v_add_f64 v[30:31], v[70:71], -v[30:31]
	v_add_f64 v[62:63], v[76:77], -v[66:67]
	v_fmac_f64_e32 v[74:75], s[10:11], v[60:61]
	v_add_f64 v[98:99], v[24:25], -v[34:35]
	ds_write_b128 v104, v[4:7]
	v_fmac_f64_e32 v[50:51], s[0:1], v[72:73]
	v_fma_f64 v[4:5], v[76:77], 2.0, -v[62:63]
	v_fma_f64 v[6:7], v[78:79], 2.0, -v[74:75]
	v_add_f64 v[82:83], v[26:27], v[30:31]
	v_fma_f64 v[78:79], v[24:25], 2.0, -v[98:99]
	v_fma_f64 v[52:53], v[18:19], 2.0, -v[48:49]
	;; [unrolled: 1-line block ×4, first 2 shown]
	v_fma_f64 v[18:19], s[10:11], v[78:79], v[4:5]
	v_fma_f64 v[20:21], s[2:3], v[52:53], v[6:7]
	v_fmac_f64_e32 v[18:19], s[10:11], v[100:101]
	v_fmac_f64_e32 v[20:21], s[6:7], v[54:55]
	v_fma_f64 v[4:5], v[4:5], 2.0, -v[18:19]
	v_fma_f64 v[6:7], v[6:7], 2.0, -v[20:21]
	ds_write_b128 v104, v[4:7] offset:16
	v_fma_f64 v[72:73], v[70:71], 2.0, -v[30:31]
	v_fma_f64 v[4:5], v[22:23], 2.0, -v[34:35]
	s_mov_b32 s13, 0x3fd87de2
	s_mov_b32 s12, s2
	v_add_f64 v[76:77], v[72:73], -v[4:5]
	v_fma_f64 v[24:25], s[12:13], v[16:17], v[32:33]
	v_add_f64 v[22:23], v[28:29], -v[76:77]
	v_fmac_f64_e32 v[24:25], s[6:7], v[38:39]
	v_fma_f64 v[4:5], v[28:29], 2.0, -v[22:23]
	v_fma_f64 v[6:7], v[32:33], 2.0, -v[24:25]
	ds_write_b128 v104, v[4:7] offset:32
	v_fma_f64 v[4:5], s[0:1], v[98:99], v[62:63]
	v_fmac_f64_e32 v[4:5], s[10:11], v[82:83]
	s_mov_b32 s11, 0x3fed906b
	s_mov_b32 s10, s6
	v_fma_f64 v[6:7], s[10:11], v[48:49], v[74:75]
	v_fmac_f64_e32 v[6:7], s[2:3], v[50:51]
	v_fma_f64 v[26:27], v[62:63], 2.0, -v[4:5]
	v_fma_f64 v[28:29], v[74:75], 2.0, -v[6:7]
	v_mul_f64 v[88:89], v[80:81], s[0:1]
	v_mul_f64 v[90:91], v[58:59], s[0:1]
	;; [unrolled: 1-line block ×8, first 2 shown]
	s_movk_i32 s0, 0xff88
	ds_write_b128 v104, v[26:29] offset:48
	ds_write_b128 v104, v[10:13] offset:64
	;; [unrolled: 1-line block ×3, first 2 shown]
	v_mad_i32_i24 v10, v93, s0, v104
	v_lshl_add_u32 v98, v94, 3, 0
	ds_write_b128 v104, v[22:25] offset:96
	ds_write_b128 v104, v[4:7] offset:112
	s_waitcnt lgkmcnt(0)
	; wave barrier
	s_waitcnt lgkmcnt(0)
	v_add_u32_e32 v18, 0x1000, v10
	v_add_u32_e32 v19, 0x800, v10
	v_lshl_add_u32 v99, v95, 3, 0
	v_lshl_add_u32 v100, v96, 3, 0
	;; [unrolled: 1-line block ×3, first 2 shown]
	ds_read_b64 v[62:63], v98
	ds_read_b64 v[60:61], v99
	;; [unrolled: 1-line block ×4, first 2 shown]
	ds_read_b64 v[82:83], v10 offset:5632
	ds_read2st64_b64 v[10:13], v10 offset1:4
	ds_read2_b64 v[34:37], v18 offset1:48
	ds_read2_b64 v[26:29], v18 offset0:96 offset1:144
	ds_read2_b64 v[30:33], v19 offset0:48 offset1:96
	;; [unrolled: 1-line block ×3, first 2 shown]
	v_mul_i32_i24_e32 v18, 0xffffff88, v93
	v_cmp_gt_u32_e64 s[0:1], 16, v93
	v_add_u32_e32 v102, v104, v18
	v_lshl_add_u32 v103, v103, 3, 0
                                        ; implicit-def: $vgpr20_vgpr21
	s_and_saveexec_b64 s[14:15], s[0:1]
	s_cbranch_execz .LBB0_15
; %bb.14:
	v_add_u32_e32 v18, 0x180, v102
	ds_read_b64 v[6:7], v103
	ds_read2st64_b64 v[18:21], v18 offset0:7 offset1:11
.LBB0_15:
	s_or_b64 exec, exec, s[14:15]
	v_add_f64 v[14:15], v[2:3], -v[14:15]
	v_fma_f64 v[2:3], v[2:3], 2.0, -v[14:15]
	v_fma_f64 v[8:9], v[8:9], 2.0, -v[64:65]
	v_add_f64 v[8:9], v[2:3], -v[8:9]
	v_add_f64 v[0:1], v[0:1], v[14:15]
	v_fma_f64 v[2:3], v[2:3], 2.0, -v[8:9]
	v_fma_f64 v[14:15], v[14:15], 2.0, -v[0:1]
	;; [unrolled: 1-line block ×3, first 2 shown]
	v_add_f64 v[56:57], v[2:3], -v[56:57]
	v_add_f64 v[64:65], v[14:15], -v[90:91]
	v_add_f64 v[90:91], v[42:43], v[8:9]
	v_add_f64 v[42:43], v[0:1], v[86:87]
	v_fma_f64 v[2:3], v[2:3], 2.0, -v[56:57]
	v_add_f64 v[106:107], v[84:85], v[42:43]
	v_fma_f64 v[42:43], v[72:73], 2.0, -v[76:77]
	;; [unrolled: 2-line block ×3, first 2 shown]
	v_add_f64 v[64:65], v[2:3], -v[42:43]
	v_fma_f64 v[0:1], v[0:1], 2.0, -v[106:107]
	v_fma_f64 v[42:43], v[2:3], 2.0, -v[64:65]
	v_add_f64 v[2:3], v[8:9], -v[80:81]
	v_fma_f64 v[14:15], v[14:15], 2.0, -v[88:89]
	v_add_f64 v[76:77], v[78:79], v[2:3]
	v_fma_f64 v[78:79], s[2:3], v[54:55], v[0:1]
	v_fma_f64 v[66:67], s[6:7], v[46:47], v[14:15]
	v_fmac_f64_e32 v[78:79], s[10:11], v[52:53]
	v_fmac_f64_e32 v[66:67], s[12:13], v[44:45]
	v_fma_f64 v[86:87], v[0:1], 2.0, -v[78:79]
	v_fma_f64 v[54:55], s[12:13], v[38:39], v[88:89]
	v_add_f64 v[0:1], v[74:75], v[90:91]
	v_fma_f64 v[2:3], s[10:11], v[50:51], v[106:107]
	v_fma_f64 v[44:45], v[14:15], 2.0, -v[66:67]
	v_add_f64 v[52:53], v[40:41], v[56:57]
	v_fmac_f64_e32 v[54:55], s[10:11], v[16:17]
	v_add_f64 v[0:1], v[70:71], v[0:1]
	v_fmac_f64_e32 v[2:3], s[12:13], v[48:49]
	v_fma_f64 v[84:85], v[8:9], 2.0, -v[76:77]
	v_fma_f64 v[14:15], v[56:57], 2.0, -v[52:53]
	;; [unrolled: 1-line block ×5, first 2 shown]
	s_waitcnt lgkmcnt(0)
	; wave barrier
	s_waitcnt lgkmcnt(0)
	ds_write_b128 v104, v[42:45]
	ds_write_b128 v104, v[84:87] offset:16
	ds_write_b128 v104, v[14:17] offset:32
	;; [unrolled: 1-line block ×7, first 2 shown]
	v_add_u32_e32 v0, 0x1000, v102
	v_add_u32_e32 v1, 0x800, v102
	s_waitcnt lgkmcnt(0)
	; wave barrier
	s_waitcnt lgkmcnt(0)
	ds_read2st64_b64 v[14:17], v102 offset1:4
	ds_read2_b64 v[54:57], v0 offset1:48
	ds_read2_b64 v[50:53], v1 offset0:48 offset1:96
	ds_read2_b64 v[46:49], v0 offset0:96 offset1:144
	;; [unrolled: 1-line block ×3, first 2 shown]
	ds_read_b64 v[70:71], v98
	ds_read_b64 v[66:67], v99
	;; [unrolled: 1-line block ×4, first 2 shown]
	ds_read_b64 v[84:85], v102 offset:5632
                                        ; implicit-def: $vgpr40_vgpr41
	s_and_saveexec_b64 s[2:3], s[0:1]
	s_cbranch_execz .LBB0_17
; %bb.16:
	v_add_u32_e32 v8, 0x180, v102
	ds_read_b64 v[2:3], v103
	ds_read2st64_b64 v[38:41], v8 offset0:7 offset1:11
.LBB0_17:
	s_or_b64 exec, exec, s[2:3]
	v_and_b32_e32 v108, 15, v93
	v_lshlrev_b32_e32 v8, 5, v108
	global_load_dwordx4 v[86:89], v8, s[4:5] offset:16
	global_load_dwordx4 v[104:107], v8, s[4:5]
	s_mov_b32 s2, 0xe8584caa
	s_mov_b32 s3, 0x3febb67a
	;; [unrolled: 1-line block ×4, first 2 shown]
	s_waitcnt vmcnt(1)
	v_mul_f64 v[80:81], v[34:35], v[88:89]
	s_waitcnt vmcnt(0) lgkmcnt(9)
	v_mul_f64 v[8:9], v[16:17], v[106:107]
	v_fma_f64 v[72:73], v[12:13], v[104:105], -v[8:9]
	s_waitcnt lgkmcnt(8)
	v_mul_f64 v[8:9], v[54:55], v[88:89]
	v_fma_f64 v[76:77], v[34:35], v[86:87], -v[8:9]
	s_waitcnt lgkmcnt(7)
	v_mul_f64 v[8:9], v[50:51], v[106:107]
	v_fmac_f64_e32 v[80:81], v[54:55], v[86:87]
	v_fma_f64 v[34:35], v[30:31], v[104:105], -v[8:9]
	v_mul_f64 v[54:55], v[30:31], v[106:107]
	v_mul_f64 v[8:9], v[56:57], v[88:89]
	;; [unrolled: 1-line block ×3, first 2 shown]
	v_fmac_f64_e32 v[54:55], v[50:51], v[104:105]
	v_fma_f64 v[50:51], v[36:37], v[86:87], -v[8:9]
	v_mul_f64 v[8:9], v[52:53], v[106:107]
	v_fmac_f64_e32 v[74:75], v[16:17], v[104:105]
	v_fma_f64 v[16:17], v[32:33], v[104:105], -v[8:9]
	s_waitcnt lgkmcnt(6)
	v_mul_f64 v[8:9], v[46:47], v[88:89]
	v_mul_f64 v[78:79], v[36:37], v[88:89]
	v_mul_f64 v[32:33], v[32:33], v[106:107]
	v_fma_f64 v[36:37], v[26:27], v[86:87], -v[8:9]
	s_waitcnt lgkmcnt(5)
	v_mul_f64 v[8:9], v[42:43], v[106:107]
	v_fmac_f64_e32 v[32:33], v[52:53], v[104:105]
	v_mul_f64 v[52:53], v[26:27], v[88:89]
	v_fma_f64 v[12:13], v[22:23], v[104:105], -v[8:9]
	v_mul_f64 v[26:27], v[22:23], v[106:107]
	v_mul_f64 v[8:9], v[48:49], v[88:89]
	;; [unrolled: 1-line block ×3, first 2 shown]
	v_fma_f64 v[30:31], v[28:29], v[86:87], -v[8:9]
	v_mul_f64 v[8:9], v[44:45], v[106:107]
	v_fmac_f64_e32 v[22:23], v[44:45], v[104:105]
	v_lshlrev_b32_e32 v44, 5, v93
	v_fmac_f64_e32 v[26:27], v[42:43], v[104:105]
	v_mul_f64 v[42:43], v[28:29], v[88:89]
	v_fma_f64 v[8:9], v[24:25], v[104:105], -v[8:9]
	s_waitcnt lgkmcnt(0)
	v_mul_f64 v[24:25], v[84:85], v[88:89]
	v_mul_f64 v[28:29], v[82:83], v[88:89]
	v_and_b32_e32 v44, 0x1e0, v44
	v_fmac_f64_e32 v[78:79], v[56:57], v[86:87]
	v_fmac_f64_e32 v[52:53], v[46:47], v[86:87]
	;; [unrolled: 1-line block ×3, first 2 shown]
	v_fma_f64 v[24:25], v[82:83], v[86:87], -v[24:25]
	v_fmac_f64_e32 v[28:29], v[84:85], v[86:87]
	global_load_dwordx4 v[82:85], v44, s[4:5] offset:16
	global_load_dwordx4 v[86:89], v44, s[4:5]
	s_waitcnt lgkmcnt(0)
	; wave barrier
	s_waitcnt vmcnt(1)
	v_mul_f64 v[48:49], v[20:21], v[84:85]
	s_waitcnt vmcnt(0)
	v_mul_f64 v[44:45], v[38:39], v[88:89]
	v_fma_f64 v[44:45], v[18:19], v[86:87], -v[44:45]
	v_mul_f64 v[46:47], v[18:19], v[88:89]
	v_mul_f64 v[18:19], v[40:41], v[84:85]
	v_fmac_f64_e32 v[46:47], v[38:39], v[86:87]
	v_fma_f64 v[38:39], v[20:21], v[82:83], -v[18:19]
	v_add_f64 v[20:21], v[72:73], v[76:77]
	v_fmac_f64_e32 v[48:49], v[40:41], v[82:83]
	v_add_f64 v[18:19], v[10:11], v[72:73]
	v_fmac_f64_e32 v[10:11], -0.5, v[20:21]
	v_add_f64 v[20:21], v[74:75], -v[80:81]
	v_add_f64 v[40:41], v[34:35], v[50:51]
	v_fma_f64 v[56:57], s[2:3], v[20:21], v[10:11]
	v_fmac_f64_e32 v[10:11], s[6:7], v[20:21]
	v_add_f64 v[20:21], v[62:63], v[34:35]
	v_fmac_f64_e32 v[62:63], -0.5, v[40:41]
	v_add_f64 v[40:41], v[54:55], -v[78:79]
	v_fma_f64 v[82:83], s[2:3], v[40:41], v[62:63]
	v_fmac_f64_e32 v[62:63], s[6:7], v[40:41]
	v_add_f64 v[40:41], v[60:61], v[16:17]
	v_add_f64 v[84:85], v[40:41], v[36:37]
	v_add_f64 v[40:41], v[16:17], v[36:37]
	v_fmac_f64_e32 v[60:61], -0.5, v[40:41]
	v_add_f64 v[40:41], v[32:33], -v[52:53]
	v_fma_f64 v[86:87], s[2:3], v[40:41], v[60:61]
	v_fmac_f64_e32 v[60:61], s[6:7], v[40:41]
	v_add_f64 v[40:41], v[58:59], v[12:13]
	v_add_f64 v[88:89], v[40:41], v[30:31]
	;; [unrolled: 7-line block ×3, first 2 shown]
	v_add_f64 v[40:41], v[8:9], v[24:25]
	v_fmac_f64_e32 v[4:5], -0.5, v[40:41]
	v_add_f64 v[40:41], v[22:23], -v[28:29]
	v_fma_f64 v[106:107], s[2:3], v[40:41], v[4:5]
	v_fmac_f64_e32 v[4:5], s[6:7], v[40:41]
	v_lshrrev_b32_e32 v40, 4, v93
	v_mul_u32_u24_e32 v40, 48, v40
	v_or_b32_e32 v40, v40, v108
	v_add_f64 v[18:19], v[18:19], v[76:77]
	v_lshl_add_u32 v41, v40, 3, 0
	ds_write2_b64 v41, v[18:19], v[56:57] offset1:16
	ds_write_b64 v41, v[10:11] offset:256
	v_lshrrev_b32_e32 v10, 4, v94
	v_mul_lo_u32 v10, v10, 48
	v_or_b32_e32 v10, v10, v108
	v_lshl_add_u32 v56, v10, 3, 0
	v_lshrrev_b32_e32 v10, 4, v95
	v_mul_lo_u32 v10, v10, 48
	v_or_b32_e32 v10, v10, v108
	v_lshl_add_u32 v57, v10, 3, 0
	v_lshrrev_b32_e32 v10, 4, v96
	v_mul_lo_u32 v10, v10, 48
	v_add_f64 v[20:21], v[20:21], v[50:51]
	v_or_b32_e32 v10, v10, v108
	ds_write2_b64 v56, v[20:21], v[82:83] offset1:16
	ds_write_b64 v56, v[62:63] offset:256
	ds_write2_b64 v57, v[84:85], v[86:87] offset1:16
	ds_write_b64 v57, v[60:61] offset:256
	v_lshl_add_u32 v60, v10, 3, 0
	v_lshrrev_b32_e32 v10, 4, v97
	v_mul_lo_u32 v10, v10, 48
	v_or_b32_e32 v10, v10, v108
	ds_write2_b64 v60, v[88:89], v[90:91] offset1:16
	ds_write_b64 v60, v[58:59] offset:256
	v_lshl_add_u32 v58, v10, 3, 0
	v_lshl_add_u32 v40, v93, 3, 0
	ds_write2_b64 v58, v[104:105], v[106:107] offset1:16
	ds_write_b64 v58, v[4:5] offset:256
	s_and_saveexec_b64 s[10:11], s[0:1]
	s_cbranch_execz .LBB0_19
; %bb.18:
	v_add_f64 v[4:5], v[44:45], v[38:39]
	v_fma_f64 v[4:5], -0.5, v[4:5], v[6:7]
	v_add_f64 v[10:11], v[46:47], -v[48:49]
	v_add_f64 v[6:7], v[6:7], v[44:45]
	v_fma_f64 v[18:19], s[6:7], v[10:11], v[4:5]
	v_fmac_f64_e32 v[4:5], s[2:3], v[10:11]
	v_add_f64 v[6:7], v[6:7], v[38:39]
	v_add_u32_e32 v10, 0x1000, v40
	ds_write2_b64 v10, v[6:7], v[4:5] offset0:208 offset1:224
	ds_write_b64 v40, v[18:19] offset:6016
.LBB0_19:
	s_or_b64 exec, exec, s[10:11]
	v_add_f64 v[4:5], v[14:15], v[74:75]
	v_add_f64 v[62:63], v[4:5], v[80:81]
	v_add_f64 v[4:5], v[74:75], v[80:81]
	v_fmac_f64_e32 v[14:15], -0.5, v[4:5]
	v_add_f64 v[4:5], v[72:73], -v[76:77]
	v_fma_f64 v[72:73], s[6:7], v[4:5], v[14:15]
	v_fmac_f64_e32 v[14:15], s[2:3], v[4:5]
	v_add_f64 v[4:5], v[70:71], v[54:55]
	v_add_f64 v[74:75], v[4:5], v[78:79]
	v_add_f64 v[4:5], v[54:55], v[78:79]
	v_fmac_f64_e32 v[70:71], -0.5, v[4:5]
	v_add_f64 v[4:5], v[34:35], -v[50:51]
	v_fma_f64 v[50:51], s[6:7], v[4:5], v[70:71]
	v_fmac_f64_e32 v[70:71], s[2:3], v[4:5]
	;; [unrolled: 7-line block ×4, first 2 shown]
	v_add_f64 v[4:5], v[0:1], v[22:23]
	v_add_f64 v[78:79], v[4:5], v[28:29]
	;; [unrolled: 1-line block ×3, first 2 shown]
	s_waitcnt lgkmcnt(0)
	; wave barrier
	s_waitcnt lgkmcnt(0)
	ds_read_b64 v[32:33], v98
	ds_read_b64 v[36:37], v99
	;; [unrolled: 1-line block ×6, first 2 shown]
	v_fmac_f64_e32 v[0:1], -0.5, v[4:5]
	v_add_f64 v[4:5], v[8:9], -v[24:25]
	v_fma_f64 v[80:81], s[6:7], v[4:5], v[0:1]
	v_fmac_f64_e32 v[0:1], s[2:3], v[4:5]
	v_add_u32_e32 v4, 0x800, v102
	ds_read2_b64 v[20:23], v4 offset0:32 offset1:80
	ds_read2_b64 v[8:11], v4 offset0:128 offset1:176
	v_add_u32_e32 v4, 0xc00, v102
	v_add_u32_e32 v16, 0x1000, v102
	ds_read2_b64 v[24:27], v4 offset0:96 offset1:144
	ds_read2_b64 v[4:7], v16 offset0:64 offset1:112
	;; [unrolled: 1-line block ×3, first 2 shown]
	s_waitcnt lgkmcnt(0)
	; wave barrier
	s_waitcnt lgkmcnt(0)
	ds_write2_b64 v41, v[62:63], v[72:73] offset1:16
	ds_write_b64 v41, v[14:15] offset:256
	ds_write2_b64 v56, v[74:75], v[50:51] offset1:16
	ds_write_b64 v56, v[70:71] offset:256
	;; [unrolled: 2-line block ×5, first 2 shown]
	s_and_saveexec_b64 s[2:3], s[0:1]
	s_cbranch_execz .LBB0_21
; %bb.20:
	v_add_f64 v[14:15], v[46:47], v[48:49]
	v_add_f64 v[0:1], v[2:3], v[46:47]
	v_fmac_f64_e32 v[2:3], -0.5, v[14:15]
	v_add_f64 v[14:15], v[44:45], -v[38:39]
	s_mov_b32 s1, 0xbfebb67a
	s_mov_b32 s0, 0xe8584caa
	v_fma_f64 v[38:39], s[0:1], v[14:15], v[2:3]
	s_mov_b32 s1, 0x3febb67a
	v_add_f64 v[0:1], v[0:1], v[48:49]
	v_fmac_f64_e32 v[2:3], s[0:1], v[14:15]
	v_add_u32_e32 v14, 0x1000, v40
	ds_write2_b64 v14, v[0:1], v[38:39] offset0:208 offset1:224
	ds_write_b64 v40, v[2:3] offset:6016
.LBB0_21:
	s_or_b64 exec, exec, s[2:3]
	s_waitcnt lgkmcnt(0)
	; wave barrier
	s_waitcnt lgkmcnt(0)
	s_and_saveexec_b64 s[0:1], vcc
	s_cbranch_execz .LBB0_23
; %bb.22:
	v_mul_u32_u24_e32 v0, 15, v93
	v_lshlrev_b32_e32 v14, 4, v0
	global_load_dwordx4 v[0:3], v14, s[4:5] offset:656
	global_load_dwordx4 v[38:41], v14, s[4:5] offset:672
	;; [unrolled: 1-line block ×15, first 2 shown]
	v_add_u32_e32 v14, 0xc00, v102
	v_add_u32_e32 v93, 0x800, v102
	v_add_u32_e32 v122, 0x1000, v102
	ds_read2_b64 v[108:111], v14 offset0:96 offset1:144
	ds_read_b64 v[14:15], v101
	ds_read_b64 v[66:67], v100
	;; [unrolled: 1-line block ×6, first 2 shown]
	ds_read2_b64 v[98:101], v93 offset0:32 offset1:80
	s_mov_b32 s0, 0x667f3bcd
	s_mov_b32 s1, 0x3fe6a09e
	;; [unrolled: 1-line block ×12, first 2 shown]
	s_waitcnt vmcnt(14) lgkmcnt(7)
	v_mul_f64 v[116:117], v[108:109], v[2:3]
	v_mul_f64 v[118:119], v[24:25], v[2:3]
	v_fma_f64 v[116:117], v[24:25], v[0:1], -v[116:117]
	v_fmac_f64_e32 v[118:119], v[0:1], v[108:109]
	ds_read2_b64 v[0:3], v122 offset0:160 offset1:208
	s_waitcnt vmcnt(13)
	v_mul_f64 v[120:121], v[26:27], v[40:41]
	v_mul_f64 v[24:25], v[110:111], v[40:41]
	v_fmac_f64_e32 v[120:121], v[38:39], v[110:111]
	s_waitcnt vmcnt(12)
	v_mul_f64 v[110:111], v[20:21], v[44:45]
	s_waitcnt lgkmcnt(1)
	v_mul_f64 v[44:45], v[98:99], v[44:45]
	v_fmac_f64_e32 v[110:111], v[98:99], v[42:43]
	v_fma_f64 v[20:21], v[20:21], v[42:43], -v[44:45]
	s_waitcnt vmcnt(11)
	v_mul_f64 v[42:43], v[90:91], v[48:49]
	v_fma_f64 v[108:109], v[26:27], v[38:39], -v[24:25]
	ds_read2_b64 v[24:27], v93 offset0:128 offset1:176
	s_waitcnt vmcnt(9)
	v_mul_f64 v[98:99], v[16:17], v[56:57]
	v_mul_f64 v[48:49], v[36:37], v[48:49]
	v_fma_f64 v[36:37], v[36:37], v[46:47], -v[42:43]
	s_waitcnt lgkmcnt(1)
	v_mul_f64 v[42:43], v[0:1], v[56:57]
	v_fmac_f64_e32 v[98:99], v[0:1], v[54:55]
	v_fma_f64 v[0:1], v[16:17], v[54:55], -v[42:43]
	s_waitcnt vmcnt(1)
	v_mul_f64 v[42:43], v[18:19], v[96:97]
	ds_read2_b64 v[38:41], v122 offset0:64 offset1:112
	v_fmac_f64_e32 v[42:43], v[2:3], v[94:95]
	v_mul_f64 v[2:3], v[2:3], v[96:97]
	v_fmac_f64_e32 v[48:49], v[46:47], v[90:91]
	v_mul_f64 v[46:47], v[112:113], v[76:77]
	v_fma_f64 v[2:3], v[18:19], v[94:95], -v[2:3]
	v_add_f64 v[18:19], v[20:21], -v[0:1]
	s_waitcnt vmcnt(0)
	v_mul_f64 v[0:1], v[66:67], v[106:107]
	v_fma_f64 v[46:47], v[32:33], v[74:75], -v[46:47]
	v_fma_f64 v[124:125], v[34:35], v[104:105], -v[0:1]
	v_mul_f64 v[32:33], v[32:33], v[76:77]
	v_mul_f64 v[0:1], v[10:11], v[80:81]
	v_fmac_f64_e32 v[32:33], v[74:75], v[112:113]
	s_waitcnt lgkmcnt(1)
	v_fmac_f64_e32 v[0:1], v[78:79], v[26:27]
	v_mul_f64 v[56:57], v[26:27], v[80:81]
	v_add_f64 v[26:27], v[32:33], -v[0:1]
	v_mul_f64 v[0:1], v[102:103], v[84:85]
	v_mul_f64 v[90:91], v[30:31], v[84:85]
	v_fma_f64 v[30:31], v[30:31], v[82:83], -v[0:1]
	s_waitcnt lgkmcnt(0)
	v_mul_f64 v[0:1], v[40:41], v[88:89]
	v_fma_f64 v[0:1], v[6:7], v[86:87], -v[0:1]
	v_mul_f64 v[44:45], v[22:23], v[52:53]
	v_mul_f64 v[52:53], v[100:101], v[52:53]
	;; [unrolled: 1-line block ×3, first 2 shown]
	v_add_f64 v[6:7], v[30:31], -v[0:1]
	v_mul_f64 v[0:1], v[24:25], v[60:61]
	v_fmac_f64_e32 v[44:45], v[100:101], v[50:51]
	v_fma_f64 v[22:23], v[22:23], v[50:51], -v[52:53]
	v_mul_f64 v[50:51], v[8:9], v[60:61]
	v_mul_f64 v[52:53], v[14:15], v[64:65]
	v_fma_f64 v[0:1], v[8:9], v[58:59], -v[0:1]
	v_fmac_f64_e32 v[50:51], v[24:25], v[58:59]
	v_fma_f64 v[52:53], v[28:29], v[62:63], -v[52:53]
	v_add_f64 v[24:25], v[12:13], -v[0:1]
	v_mul_f64 v[28:29], v[28:29], v[64:65]
	v_mul_f64 v[0:1], v[4:5], v[72:73]
	;; [unrolled: 1-line block ×3, first 2 shown]
	v_fmac_f64_e32 v[28:29], v[62:63], v[14:15]
	v_fmac_f64_e32 v[0:1], v[70:71], v[38:39]
	v_fma_f64 v[54:55], v[4:5], v[70:71], -v[100:101]
	v_add_f64 v[50:51], v[114:115], -v[50:51]
	v_add_f64 v[4:5], v[28:29], -v[0:1]
	v_fma_f64 v[56:57], v[10:11], v[78:79], -v[56:57]
	v_add_f64 v[94:95], v[36:37], -v[116:117]
	v_mul_f64 v[34:35], v[34:35], v[106:107]
	v_add_f64 v[58:59], v[24:25], -v[4:5]
	v_fma_f64 v[38:39], v[114:115], 2.0, -v[50:51]
	v_fma_f64 v[4:5], v[28:29], 2.0, -v[4:5]
	v_add_f64 v[56:57], v[46:47], -v[56:57]
	v_fmac_f64_e32 v[34:35], v[104:105], v[66:67]
	v_add_f64 v[62:63], v[38:39], -v[4:5]
	v_fma_f64 v[28:29], v[36:37], 2.0, -v[94:95]
	v_fma_f64 v[4:5], v[20:21], 2.0, -v[18:19]
	v_fmac_f64_e32 v[90:91], v[102:103], v[82:83]
	v_fmac_f64_e32 v[16:17], v[40:41], v[86:87]
	v_add_f64 v[42:43], v[44:45], -v[42:43]
	v_add_f64 v[120:121], v[34:35], -v[120:121]
	v_add_f64 v[36:37], v[28:29], -v[4:5]
	v_fma_f64 v[46:47], v[46:47], 2.0, -v[56:57]
	v_fma_f64 v[4:5], v[30:31], 2.0, -v[6:7]
	v_add_f64 v[16:17], v[90:91], -v[16:17]
	v_add_f64 v[104:105], v[124:125], -v[108:109]
	v_add_f64 v[70:71], v[46:47], -v[4:5]
	v_fma_f64 v[34:35], v[34:35], 2.0, -v[120:121]
	v_fma_f64 v[4:5], v[44:45], 2.0, -v[42:43]
	;; [unrolled: 5-line block ×3, first 2 shown]
	v_add_f64 v[54:55], v[52:53], -v[54:55]
	v_add_f64 v[72:73], v[32:33], -v[4:5]
	v_fma_f64 v[30:31], v[124:125], 2.0, -v[104:105]
	v_fma_f64 v[4:5], v[22:23], 2.0, -v[126:127]
	v_add_f64 v[96:97], v[110:111], -v[98:99]
	v_add_f64 v[98:99], v[48:49], -v[118:119]
	;; [unrolled: 1-line block ×3, first 2 shown]
	v_fma_f64 v[82:83], v[12:13], 2.0, -v[24:25]
	v_fma_f64 v[4:5], v[52:53], 2.0, -v[54:55]
	v_add_f64 v[52:53], v[82:83], -v[4:5]
	v_fma_f64 v[48:49], v[48:49], 2.0, -v[98:99]
	v_fma_f64 v[4:5], v[110:111], 2.0, -v[96:97]
	v_add_f64 v[100:101], v[94:95], -v[96:97]
	v_add_f64 v[116:117], v[50:51], v[54:55]
	v_add_f64 v[118:119], v[98:99], v[18:19]
	;; [unrolled: 1-line block ×4, first 2 shown]
	v_add_f64 v[54:55], v[48:49], -v[4:5]
	v_fma_f64 v[122:123], s[0:1], v[118:119], v[116:117]
	v_add_f64 v[66:67], v[56:57], -v[16:17]
	v_fma_f64 v[76:77], s[0:1], v[74:75], v[40:41]
	v_fma_f64 v[12:13], v[94:95], 2.0, -v[100:101]
	v_fma_f64 v[20:21], v[98:99], 2.0, -v[118:119]
	;; [unrolled: 1-line block ×5, first 2 shown]
	v_fmac_f64_e32 v[122:123], s[0:1], v[100:101]
	v_fma_f64 v[108:109], s[0:1], v[106:107], v[66:67]
	v_fmac_f64_e32 v[76:77], s[0:1], v[106:107]
	v_fma_f64 v[60:61], s[0:1], v[100:101], v[58:59]
	v_add_f64 v[100:101], v[98:99], -v[24:25]
	v_fma_f64 v[102:103], v[46:47], 2.0, -v[70:71]
	v_fma_f64 v[24:25], v[30:31], 2.0, -v[78:79]
	v_fmac_f64_e32 v[108:109], s[2:3], v[74:75]
	v_add_f64 v[80:81], v[72:73], v[78:79]
	v_fma_f64 v[14:15], v[104:105], 2.0, -v[106:107]
	v_fma_f64 v[22:23], v[120:121], 2.0, -v[74:75]
	;; [unrolled: 1-line block ×3, first 2 shown]
	v_add_f64 v[78:79], v[102:103], -v[24:25]
	v_fma_f64 v[82:83], v[82:83], 2.0, -v[52:53]
	v_fma_f64 v[24:25], v[28:29], 2.0, -v[36:37]
	;; [unrolled: 1-line block ×5, first 2 shown]
	v_fmac_f64_e32 v[60:61], s[2:3], v[118:119]
	v_add_f64 v[64:65], v[36:37], v[62:63]
	v_add_f64 v[104:105], v[82:83], -v[24:25]
	v_fma_f64 v[24:25], v[34:35], 2.0, -v[42:43]
	v_fma_f64 v[36:37], v[66:67], 2.0, -v[108:109]
	v_fma_f64 v[34:35], s[6:7], v[40:41], v[32:33]
	v_add_f64 v[44:45], v[70:71], -v[42:43]
	v_fmac_f64_e32 v[34:35], s[10:11], v[36:37]
	v_fma_f64 v[42:43], v[58:59], 2.0, -v[60:61]
	v_fma_f64 v[38:39], v[32:33], 2.0, -v[34:35]
	v_fma_f64 v[32:33], s[6:7], v[36:37], v[42:43]
	v_fma_f64 v[6:7], s[0:1], v[80:81], v[64:65]
	v_add_f64 v[84:85], v[52:53], -v[54:55]
	v_fmac_f64_e32 v[32:33], s[12:13], v[40:41]
	v_fma_f64 v[40:41], v[62:63], 2.0, -v[64:65]
	v_fma_f64 v[48:49], v[72:73], 2.0, -v[80:81]
	v_fmac_f64_e32 v[6:7], s[0:1], v[44:45]
	v_fma_f64 v[4:5], s[0:1], v[44:45], v[84:85]
	v_fma_f64 v[36:37], v[42:43], 2.0, -v[32:33]
	v_fma_f64 v[44:45], v[70:71], 2.0, -v[44:45]
	v_fma_f64 v[42:43], s[2:3], v[48:49], v[40:41]
	v_fma_f64 v[50:51], v[50:51], 2.0, -v[116:117]
	v_fma_f64 v[56:57], v[56:57], 2.0, -v[66:67]
	v_fmac_f64_e32 v[42:43], s[0:1], v[44:45]
	v_fma_f64 v[52:53], v[52:53], 2.0, -v[84:85]
	v_fma_f64 v[86:87], s[2:3], v[20:21], v[50:51]
	v_fma_f64 v[88:89], s[2:3], v[14:15], v[56:57]
	;; [unrolled: 1-line block ×3, first 2 shown]
	v_fma_f64 v[46:47], v[40:41], 2.0, -v[42:43]
	v_fma_f64 v[40:41], s[2:3], v[44:45], v[52:53]
	v_fmac_f64_e32 v[86:87], s[0:1], v[12:13]
	v_fmac_f64_e32 v[88:89], s[2:3], v[22:23]
	;; [unrolled: 1-line block ×4, first 2 shown]
	v_fma_f64 v[96:97], s[2:3], v[12:13], v[94:95]
	v_fma_f64 v[44:45], v[52:53], 2.0, -v[40:41]
	v_fma_f64 v[48:49], v[50:51], 2.0, -v[86:87]
	v_fma_f64 v[52:53], v[56:57], 2.0, -v[88:89]
	v_fma_f64 v[56:57], v[74:75], 2.0, -v[90:91]
	v_fmac_f64_e32 v[96:97], s[2:3], v[20:21]
	v_fma_f64 v[50:51], s[12:13], v[56:57], v[48:49]
	v_fmac_f64_e32 v[50:51], s[4:5], v[52:53]
	v_fma_f64 v[58:59], v[94:95], 2.0, -v[96:97]
	v_fma_f64 v[54:55], v[48:49], 2.0, -v[50:51]
	v_fma_f64 v[48:49], s[12:13], v[52:53], v[58:59]
	v_add_f64 v[110:111], v[106:107], -v[24:25]
	v_fmac_f64_e32 v[48:49], s[6:7], v[56:57]
	v_fma_f64 v[0:1], s[10:11], v[108:109], v[60:61]
	v_fma_f64 v[18:19], v[64:65], 2.0, -v[6:7]
	v_fma_f64 v[52:53], v[58:59], 2.0, -v[48:49]
	;; [unrolled: 1-line block ×4, first 2 shown]
	v_mad_u64_u32 v[64:65], s[0:1], s8, v92, 0
	v_fmac_f64_e32 v[0:1], s[6:7], v[76:77]
	v_add_f64 v[58:59], v[56:57], -v[58:59]
	v_mov_b32_e32 v66, v65
	v_fma_f64 v[8:9], v[60:61], 2.0, -v[0:1]
	v_fma_f64 v[62:63], v[56:57], 2.0, -v[58:59]
	;; [unrolled: 1-line block ×4, first 2 shown]
	v_mad_u64_u32 v[66:67], s[0:1], s9, v92, v[66:67]
	v_add_f64 v[56:57], v[60:61], -v[56:57]
	v_mov_b32_e32 v65, v66
	v_fma_f64 v[60:61], v[60:61], 2.0, -v[56:57]
	v_lshl_add_u64 v[64:65], v[64:65], 4, v[68:69]
	global_store_dwordx4 v[64:65], v[60:63], off
	v_add_f64 v[26:27], v[100:101], v[78:79]
	v_add_f64 v[24:25], v[104:105], -v[110:111]
	v_add_u32_e32 v63, 48, v92
	v_mad_u64_u32 v[60:61], s[0:1], s8, v63, 0
	v_mov_b32_e32 v62, v61
	v_mad_u64_u32 v[62:63], s[0:1], s9, v63, v[62:63]
	v_mov_b32_e32 v61, v62
	v_lshl_add_u64 v[60:61], v[60:61], 4, v[68:69]
	global_store_dwordx4 v[60:61], v[52:55], off
	v_fma_f64 v[30:31], v[100:101], 2.0, -v[26:27]
	v_fma_f64 v[28:29], v[104:105], 2.0, -v[24:25]
	v_add_u32_e32 v55, 0x60, v92
	v_mad_u64_u32 v[52:53], s[0:1], s8, v55, 0
	v_mov_b32_e32 v54, v53
	v_mad_u64_u32 v[54:55], s[0:1], s9, v55, v[54:55]
	v_mov_b32_e32 v53, v54
	v_lshl_add_u64 v[52:53], v[52:53], 4, v[68:69]
	global_store_dwordx4 v[52:53], v[44:47], off
	v_fma_f64 v[14:15], s[4:5], v[90:91], v[86:87]
	v_fma_f64 v[12:13], s[4:5], v[88:89], v[96:97]
	v_add_u32_e32 v47, 0x90, v92
	v_mad_u64_u32 v[44:45], s[0:1], s8, v47, 0
	v_mov_b32_e32 v46, v45
	v_mad_u64_u32 v[46:47], s[0:1], s9, v47, v[46:47]
	v_mov_b32_e32 v45, v46
	v_lshl_add_u64 v[44:45], v[44:45], 4, v[68:69]
	global_store_dwordx4 v[44:45], v[36:39], off
	v_fmac_f64_e32 v[14:15], s[10:11], v[88:89]
	v_fmac_f64_e32 v[12:13], s[12:13], v[90:91]
	v_or_b32_e32 v39, 0xc0, v92
	v_mad_u64_u32 v[36:37], s[0:1], s8, v39, 0
	v_mov_b32_e32 v38, v37
	v_mad_u64_u32 v[38:39], s[0:1], s9, v39, v[38:39]
	v_mov_b32_e32 v37, v38
	v_lshl_add_u64 v[36:37], v[36:37], 4, v[68:69]
	global_store_dwordx4 v[36:37], v[28:31], off
	v_fma_f64 v[22:23], v[86:87], 2.0, -v[14:15]
	v_fma_f64 v[20:21], v[96:97], 2.0, -v[12:13]
	v_add_u32_e32 v31, 0xf0, v92
	v_mad_u64_u32 v[28:29], s[0:1], s8, v31, 0
	v_mov_b32_e32 v30, v29
	v_mad_u64_u32 v[30:31], s[0:1], s9, v31, v[30:31]
	v_mov_b32_e32 v29, v30
	v_lshl_add_u64 v[28:29], v[28:29], 4, v[68:69]
	global_store_dwordx4 v[28:29], v[20:23], off
	v_fmac_f64_e32 v[4:5], s[2:3], v[80:81]
	v_fma_f64 v[16:17], v[84:85], 2.0, -v[4:5]
	v_add_u32_e32 v23, 0x120, v92
	v_mad_u64_u32 v[20:21], s[0:1], s8, v23, 0
	v_mov_b32_e32 v22, v21
	v_mad_u64_u32 v[22:23], s[0:1], s9, v23, v[22:23]
	v_mov_b32_e32 v21, v22
	v_lshl_add_u64 v[20:21], v[20:21], 4, v[68:69]
	global_store_dwordx4 v[20:21], v[16:19], off
	v_fma_f64 v[2:3], s[10:11], v[76:77], v[122:123]
	v_fmac_f64_e32 v[2:3], s[4:5], v[108:109]
	v_add_u32_e32 v19, 0x150, v92
	v_mad_u64_u32 v[16:17], s[0:1], s8, v19, 0
	v_mov_b32_e32 v18, v17
	v_mad_u64_u32 v[18:19], s[0:1], s9, v19, v[18:19]
	v_mov_b32_e32 v17, v18
	v_fma_f64 v[10:11], v[122:123], 2.0, -v[2:3]
	v_lshl_add_u64 v[16:17], v[16:17], 4, v[68:69]
	global_store_dwordx4 v[16:17], v[8:11], off
	s_nop 1
	v_or_b32_e32 v11, 0x180, v92
	v_mad_u64_u32 v[8:9], s[0:1], s8, v11, 0
	v_mov_b32_e32 v10, v9
	v_mad_u64_u32 v[10:11], s[0:1], s9, v11, v[10:11]
	v_mov_b32_e32 v9, v10
	v_lshl_add_u64 v[8:9], v[8:9], 4, v[68:69]
	v_add_u32_e32 v11, 0x1b0, v92
	global_store_dwordx4 v[8:9], v[56:59], off
	v_mad_u64_u32 v[8:9], s[0:1], s8, v11, 0
	v_mov_b32_e32 v10, v9
	v_mad_u64_u32 v[10:11], s[0:1], s9, v11, v[10:11]
	v_mov_b32_e32 v9, v10
	v_lshl_add_u64 v[8:9], v[8:9], 4, v[68:69]
	v_add_u32_e32 v11, 0x1e0, v92
	global_store_dwordx4 v[8:9], v[48:51], off
	v_mad_u64_u32 v[8:9], s[0:1], s8, v11, 0
	v_mov_b32_e32 v10, v9
	v_mad_u64_u32 v[10:11], s[0:1], s9, v11, v[10:11]
	v_mov_b32_e32 v9, v10
	v_lshl_add_u64 v[8:9], v[8:9], 4, v[68:69]
	v_add_u32_e32 v11, 0x210, v92
	global_store_dwordx4 v[8:9], v[40:43], off
	v_mad_u64_u32 v[8:9], s[0:1], s8, v11, 0
	v_mov_b32_e32 v10, v9
	v_mad_u64_u32 v[10:11], s[0:1], s9, v11, v[10:11]
	v_mov_b32_e32 v9, v10
	v_lshl_add_u64 v[8:9], v[8:9], 4, v[68:69]
	v_or_b32_e32 v11, 0x240, v92
	global_store_dwordx4 v[8:9], v[32:35], off
	v_mad_u64_u32 v[8:9], s[0:1], s8, v11, 0
	v_mov_b32_e32 v10, v9
	v_mad_u64_u32 v[10:11], s[0:1], s9, v11, v[10:11]
	v_mov_b32_e32 v9, v10
	v_lshl_add_u64 v[8:9], v[8:9], 4, v[68:69]
	v_add_u32_e32 v11, 0x270, v92
	global_store_dwordx4 v[8:9], v[24:27], off
	v_mad_u64_u32 v[8:9], s[0:1], s8, v11, 0
	v_mov_b32_e32 v10, v9
	v_mad_u64_u32 v[10:11], s[0:1], s9, v11, v[10:11]
	v_mov_b32_e32 v9, v10
	v_lshl_add_u64 v[8:9], v[8:9], 4, v[68:69]
	v_add_u32_e32 v11, 0x2a0, v92
	global_store_dwordx4 v[8:9], v[12:15], off
	v_mad_u64_u32 v[8:9], s[0:1], s8, v11, 0
	v_mov_b32_e32 v10, v9
	v_mad_u64_u32 v[10:11], s[0:1], s9, v11, v[10:11]
	v_mov_b32_e32 v9, v10
	v_lshl_add_u64 v[8:9], v[8:9], 4, v[68:69]
	global_store_dwordx4 v[8:9], v[4:7], off
	s_nop 1
	v_add_u32_e32 v7, 0x2d0, v92
	v_mad_u64_u32 v[4:5], s[0:1], s8, v7, 0
	v_mov_b32_e32 v6, v5
	v_mad_u64_u32 v[6:7], s[0:1], s9, v7, v[6:7]
	v_mov_b32_e32 v5, v6
	v_lshl_add_u64 v[4:5], v[4:5], 4, v[68:69]
	global_store_dwordx4 v[4:5], v[0:3], off
.LBB0_23:
	s_endpgm
	.section	.rodata,"a",@progbits
	.p2align	6, 0x0
	.amdhsa_kernel fft_rtc_fwd_len768_factors_16_3_16_wgs_48_tpt_48_halfLds_dp_ip_CI_sbrr_dirReg
		.amdhsa_group_segment_fixed_size 0
		.amdhsa_private_segment_fixed_size 0
		.amdhsa_kernarg_size 88
		.amdhsa_user_sgpr_count 2
		.amdhsa_user_sgpr_dispatch_ptr 0
		.amdhsa_user_sgpr_queue_ptr 0
		.amdhsa_user_sgpr_kernarg_segment_ptr 1
		.amdhsa_user_sgpr_dispatch_id 0
		.amdhsa_user_sgpr_kernarg_preload_length 0
		.amdhsa_user_sgpr_kernarg_preload_offset 0
		.amdhsa_user_sgpr_private_segment_size 0
		.amdhsa_uses_dynamic_stack 0
		.amdhsa_enable_private_segment 0
		.amdhsa_system_sgpr_workgroup_id_x 1
		.amdhsa_system_sgpr_workgroup_id_y 0
		.amdhsa_system_sgpr_workgroup_id_z 0
		.amdhsa_system_sgpr_workgroup_info 0
		.amdhsa_system_vgpr_workitem_id 0
		.amdhsa_next_free_vgpr 128
		.amdhsa_next_free_sgpr 24
		.amdhsa_accum_offset 128
		.amdhsa_reserve_vcc 1
		.amdhsa_float_round_mode_32 0
		.amdhsa_float_round_mode_16_64 0
		.amdhsa_float_denorm_mode_32 3
		.amdhsa_float_denorm_mode_16_64 3
		.amdhsa_dx10_clamp 1
		.amdhsa_ieee_mode 1
		.amdhsa_fp16_overflow 0
		.amdhsa_tg_split 0
		.amdhsa_exception_fp_ieee_invalid_op 0
		.amdhsa_exception_fp_denorm_src 0
		.amdhsa_exception_fp_ieee_div_zero 0
		.amdhsa_exception_fp_ieee_overflow 0
		.amdhsa_exception_fp_ieee_underflow 0
		.amdhsa_exception_fp_ieee_inexact 0
		.amdhsa_exception_int_div_zero 0
	.end_amdhsa_kernel
	.text
.Lfunc_end0:
	.size	fft_rtc_fwd_len768_factors_16_3_16_wgs_48_tpt_48_halfLds_dp_ip_CI_sbrr_dirReg, .Lfunc_end0-fft_rtc_fwd_len768_factors_16_3_16_wgs_48_tpt_48_halfLds_dp_ip_CI_sbrr_dirReg
                                        ; -- End function
	.section	.AMDGPU.csdata,"",@progbits
; Kernel info:
; codeLenInByte = 8028
; NumSgprs: 30
; NumVgprs: 128
; NumAgprs: 0
; TotalNumVgprs: 128
; ScratchSize: 0
; MemoryBound: 1
; FloatMode: 240
; IeeeMode: 1
; LDSByteSize: 0 bytes/workgroup (compile time only)
; SGPRBlocks: 3
; VGPRBlocks: 15
; NumSGPRsForWavesPerEU: 30
; NumVGPRsForWavesPerEU: 128
; AccumOffset: 128
; Occupancy: 4
; WaveLimiterHint : 1
; COMPUTE_PGM_RSRC2:SCRATCH_EN: 0
; COMPUTE_PGM_RSRC2:USER_SGPR: 2
; COMPUTE_PGM_RSRC2:TRAP_HANDLER: 0
; COMPUTE_PGM_RSRC2:TGID_X_EN: 1
; COMPUTE_PGM_RSRC2:TGID_Y_EN: 0
; COMPUTE_PGM_RSRC2:TGID_Z_EN: 0
; COMPUTE_PGM_RSRC2:TIDIG_COMP_CNT: 0
; COMPUTE_PGM_RSRC3_GFX90A:ACCUM_OFFSET: 31
; COMPUTE_PGM_RSRC3_GFX90A:TG_SPLIT: 0
	.text
	.p2alignl 6, 3212836864
	.fill 256, 4, 3212836864
	.type	__hip_cuid_a977ecede1066256,@object ; @__hip_cuid_a977ecede1066256
	.section	.bss,"aw",@nobits
	.globl	__hip_cuid_a977ecede1066256
__hip_cuid_a977ecede1066256:
	.byte	0                               ; 0x0
	.size	__hip_cuid_a977ecede1066256, 1

	.ident	"AMD clang version 19.0.0git (https://github.com/RadeonOpenCompute/llvm-project roc-6.4.0 25133 c7fe45cf4b819c5991fe208aaa96edf142730f1d)"
	.section	".note.GNU-stack","",@progbits
	.addrsig
	.addrsig_sym __hip_cuid_a977ecede1066256
	.amdgpu_metadata
---
amdhsa.kernels:
  - .agpr_count:     0
    .args:
      - .actual_access:  read_only
        .address_space:  global
        .offset:         0
        .size:           8
        .value_kind:     global_buffer
      - .offset:         8
        .size:           8
        .value_kind:     by_value
      - .actual_access:  read_only
        .address_space:  global
        .offset:         16
        .size:           8
        .value_kind:     global_buffer
      - .actual_access:  read_only
        .address_space:  global
        .offset:         24
        .size:           8
        .value_kind:     global_buffer
      - .offset:         32
        .size:           8
        .value_kind:     by_value
      - .actual_access:  read_only
        .address_space:  global
        .offset:         40
        .size:           8
        .value_kind:     global_buffer
      - .actual_access:  read_only
        .address_space:  global
        .offset:         48
        .size:           8
        .value_kind:     global_buffer
      - .offset:         56
        .size:           4
        .value_kind:     by_value
      - .actual_access:  read_only
        .address_space:  global
        .offset:         64
        .size:           8
        .value_kind:     global_buffer
      - .actual_access:  read_only
        .address_space:  global
        .offset:         72
        .size:           8
        .value_kind:     global_buffer
      - .address_space:  global
        .offset:         80
        .size:           8
        .value_kind:     global_buffer
    .group_segment_fixed_size: 0
    .kernarg_segment_align: 8
    .kernarg_segment_size: 88
    .language:       OpenCL C
    .language_version:
      - 2
      - 0
    .max_flat_workgroup_size: 48
    .name:           fft_rtc_fwd_len768_factors_16_3_16_wgs_48_tpt_48_halfLds_dp_ip_CI_sbrr_dirReg
    .private_segment_fixed_size: 0
    .sgpr_count:     30
    .sgpr_spill_count: 0
    .symbol:         fft_rtc_fwd_len768_factors_16_3_16_wgs_48_tpt_48_halfLds_dp_ip_CI_sbrr_dirReg.kd
    .uniform_work_group_size: 1
    .uses_dynamic_stack: false
    .vgpr_count:     128
    .vgpr_spill_count: 0
    .wavefront_size: 64
amdhsa.target:   amdgcn-amd-amdhsa--gfx950
amdhsa.version:
  - 1
  - 2
...

	.end_amdgpu_metadata
